;; amdgpu-corpus repo=ROCm/rocFFT kind=compiled arch=gfx950 opt=O3
	.text
	.amdgcn_target "amdgcn-amd-amdhsa--gfx950"
	.amdhsa_code_object_version 6
	.protected	fft_rtc_fwd_len3888_factors_16_3_3_3_3_3_wgs_324_tpt_324_halfLds_dp_op_CI_CI_unitstride_sbrr_dirReg ; -- Begin function fft_rtc_fwd_len3888_factors_16_3_3_3_3_3_wgs_324_tpt_324_halfLds_dp_op_CI_CI_unitstride_sbrr_dirReg
	.globl	fft_rtc_fwd_len3888_factors_16_3_3_3_3_3_wgs_324_tpt_324_halfLds_dp_op_CI_CI_unitstride_sbrr_dirReg
	.p2align	8
	.type	fft_rtc_fwd_len3888_factors_16_3_3_3_3_3_wgs_324_tpt_324_halfLds_dp_op_CI_CI_unitstride_sbrr_dirReg,@function
fft_rtc_fwd_len3888_factors_16_3_3_3_3_3_wgs_324_tpt_324_halfLds_dp_op_CI_CI_unitstride_sbrr_dirReg: ; @fft_rtc_fwd_len3888_factors_16_3_3_3_3_3_wgs_324_tpt_324_halfLds_dp_op_CI_CI_unitstride_sbrr_dirReg
; %bb.0:
	s_load_dwordx4 s[4:7], s[0:1], 0x58
	s_load_dwordx4 s[8:11], s[0:1], 0x0
	;; [unrolled: 1-line block ×3, first 2 shown]
	v_mul_u32_u24_e32 v1, 0x195, v0
	v_lshrrev_b32_e32 v1, 17, v1
	v_add_u32_e32 v6, s2, v1
	v_mov_b32_e32 v2, 0
	s_waitcnt lgkmcnt(0)
	v_cmp_lt_u64_e64 s[2:3], s[10:11], 2
	v_mov_b32_e32 v7, v2
	s_and_b64 vcc, exec, s[2:3]
	v_mov_b64_e32 v[4:5], 0
	s_cbranch_vccnz .LBB0_8
; %bb.1:
	s_load_dwordx2 s[2:3], s[0:1], 0x10
	s_add_u32 s16, s14, 8
	s_addc_u32 s17, s15, 0
	s_add_u32 s18, s12, 8
	s_addc_u32 s19, s13, 0
	s_waitcnt lgkmcnt(0)
	s_add_u32 s20, s2, 8
	v_mov_b64_e32 v[4:5], 0
	s_addc_u32 s21, s3, 0
	s_mov_b64 s[22:23], 1
	v_mov_b64_e32 v[64:65], v[4:5]
.LBB0_2:                                ; =>This Inner Loop Header: Depth=1
	s_load_dwordx2 s[24:25], s[20:21], 0x0
                                        ; implicit-def: $vgpr68_vgpr69
	s_waitcnt lgkmcnt(0)
	v_or_b32_e32 v3, s25, v7
	v_cmp_ne_u64_e32 vcc, 0, v[2:3]
	s_and_saveexec_b64 s[2:3], vcc
	s_xor_b64 s[26:27], exec, s[2:3]
	s_cbranch_execz .LBB0_4
; %bb.3:                                ;   in Loop: Header=BB0_2 Depth=1
	v_cvt_f32_u32_e32 v1, s24
	v_cvt_f32_u32_e32 v3, s25
	s_sub_u32 s2, 0, s24
	s_subb_u32 s3, 0, s25
	v_fmac_f32_e32 v1, 0x4f800000, v3
	v_rcp_f32_e32 v1, v1
	s_nop 0
	v_mul_f32_e32 v1, 0x5f7ffffc, v1
	v_mul_f32_e32 v3, 0x2f800000, v1
	v_trunc_f32_e32 v3, v3
	v_fmac_f32_e32 v1, 0xcf800000, v3
	v_cvt_u32_f32_e32 v3, v3
	v_cvt_u32_f32_e32 v1, v1
	v_mul_lo_u32 v8, s2, v3
	v_mul_hi_u32 v10, s2, v1
	v_mul_lo_u32 v9, s3, v1
	v_add_u32_e32 v10, v10, v8
	v_mul_lo_u32 v12, s2, v1
	v_add_u32_e32 v13, v10, v9
	v_mul_hi_u32 v8, v1, v12
	v_mul_hi_u32 v11, v1, v13
	v_mul_lo_u32 v10, v1, v13
	v_mov_b32_e32 v9, v2
	v_lshl_add_u64 v[8:9], v[8:9], 0, v[10:11]
	v_mul_hi_u32 v11, v3, v12
	v_mul_lo_u32 v12, v3, v12
	v_add_co_u32_e32 v8, vcc, v8, v12
	v_mul_hi_u32 v10, v3, v13
	s_nop 0
	v_addc_co_u32_e32 v8, vcc, v9, v11, vcc
	v_mov_b32_e32 v9, v2
	s_nop 0
	v_addc_co_u32_e32 v11, vcc, 0, v10, vcc
	v_mul_lo_u32 v10, v3, v13
	v_lshl_add_u64 v[8:9], v[8:9], 0, v[10:11]
	v_add_co_u32_e32 v1, vcc, v1, v8
	v_mul_lo_u32 v10, s2, v1
	s_nop 0
	v_addc_co_u32_e32 v3, vcc, v3, v9, vcc
	v_mul_lo_u32 v8, s2, v3
	v_mul_hi_u32 v9, s2, v1
	v_add_u32_e32 v8, v9, v8
	v_mul_lo_u32 v9, s3, v1
	v_add_u32_e32 v12, v8, v9
	v_mul_hi_u32 v14, v3, v10
	v_mul_lo_u32 v15, v3, v10
	v_mul_hi_u32 v9, v1, v12
	v_mul_lo_u32 v8, v1, v12
	v_mul_hi_u32 v10, v1, v10
	v_mov_b32_e32 v11, v2
	v_lshl_add_u64 v[8:9], v[10:11], 0, v[8:9]
	v_add_co_u32_e32 v8, vcc, v8, v15
	v_mul_hi_u32 v13, v3, v12
	s_nop 0
	v_addc_co_u32_e32 v8, vcc, v9, v14, vcc
	v_mul_lo_u32 v10, v3, v12
	s_nop 0
	v_addc_co_u32_e32 v11, vcc, 0, v13, vcc
	v_mov_b32_e32 v9, v2
	v_lshl_add_u64 v[8:9], v[8:9], 0, v[10:11]
	v_add_co_u32_e32 v1, vcc, v1, v8
	v_mul_hi_u32 v10, v6, v1
	s_nop 0
	v_addc_co_u32_e32 v3, vcc, v3, v9, vcc
	v_mad_u64_u32 v[8:9], s[2:3], v6, v3, 0
	v_mov_b32_e32 v11, v2
	v_lshl_add_u64 v[8:9], v[10:11], 0, v[8:9]
	v_mad_u64_u32 v[12:13], s[2:3], v7, v1, 0
	v_add_co_u32_e32 v1, vcc, v8, v12
	v_mad_u64_u32 v[10:11], s[2:3], v7, v3, 0
	s_nop 0
	v_addc_co_u32_e32 v8, vcc, v9, v13, vcc
	v_mov_b32_e32 v9, v2
	s_nop 0
	v_addc_co_u32_e32 v11, vcc, 0, v11, vcc
	v_lshl_add_u64 v[8:9], v[8:9], 0, v[10:11]
	v_mul_lo_u32 v1, s25, v8
	v_mul_lo_u32 v3, s24, v9
	v_mad_u64_u32 v[10:11], s[2:3], s24, v8, 0
	v_add3_u32 v1, v11, v3, v1
	v_sub_u32_e32 v3, v7, v1
	v_mov_b32_e32 v11, s25
	v_sub_co_u32_e32 v14, vcc, v6, v10
	v_lshl_add_u64 v[12:13], v[8:9], 0, 1
	s_nop 0
	v_subb_co_u32_e64 v3, s[2:3], v3, v11, vcc
	v_subrev_co_u32_e64 v10, s[2:3], s24, v14
	v_subb_co_u32_e32 v1, vcc, v7, v1, vcc
	s_nop 0
	v_subbrev_co_u32_e64 v3, s[2:3], 0, v3, s[2:3]
	v_cmp_le_u32_e64 s[2:3], s25, v3
	v_cmp_le_u32_e32 vcc, s25, v1
	s_nop 0
	v_cndmask_b32_e64 v11, 0, -1, s[2:3]
	v_cmp_le_u32_e64 s[2:3], s24, v10
	s_nop 1
	v_cndmask_b32_e64 v10, 0, -1, s[2:3]
	v_cmp_eq_u32_e64 s[2:3], s25, v3
	s_nop 1
	v_cndmask_b32_e64 v3, v11, v10, s[2:3]
	v_lshl_add_u64 v[10:11], v[8:9], 0, 2
	v_cmp_ne_u32_e64 s[2:3], 0, v3
	s_nop 1
	v_cndmask_b32_e64 v3, v13, v11, s[2:3]
	v_cndmask_b32_e64 v11, 0, -1, vcc
	v_cmp_le_u32_e32 vcc, s24, v14
	s_nop 1
	v_cndmask_b32_e64 v13, 0, -1, vcc
	v_cmp_eq_u32_e32 vcc, s25, v1
	s_nop 1
	v_cndmask_b32_e32 v1, v11, v13, vcc
	v_cmp_ne_u32_e32 vcc, 0, v1
	v_cndmask_b32_e64 v1, v12, v10, s[2:3]
	s_nop 0
	v_cndmask_b32_e32 v69, v9, v3, vcc
	v_cndmask_b32_e32 v68, v8, v1, vcc
.LBB0_4:                                ;   in Loop: Header=BB0_2 Depth=1
	s_andn2_saveexec_b64 s[2:3], s[26:27]
	s_cbranch_execz .LBB0_6
; %bb.5:                                ;   in Loop: Header=BB0_2 Depth=1
	v_cvt_f32_u32_e32 v1, s24
	s_sub_i32 s26, 0, s24
	v_mov_b32_e32 v69, v2
	v_rcp_iflag_f32_e32 v1, v1
	s_nop 0
	v_mul_f32_e32 v1, 0x4f7ffffe, v1
	v_cvt_u32_f32_e32 v1, v1
	v_mul_lo_u32 v3, s26, v1
	v_mul_hi_u32 v3, v1, v3
	v_add_u32_e32 v1, v1, v3
	v_mul_hi_u32 v1, v6, v1
	v_mul_lo_u32 v3, v1, s24
	v_sub_u32_e32 v3, v6, v3
	v_add_u32_e32 v8, 1, v1
	v_subrev_u32_e32 v9, s24, v3
	v_cmp_le_u32_e32 vcc, s24, v3
	s_nop 1
	v_cndmask_b32_e32 v3, v3, v9, vcc
	v_cndmask_b32_e32 v1, v1, v8, vcc
	v_add_u32_e32 v8, 1, v1
	v_cmp_le_u32_e32 vcc, s24, v3
	s_nop 1
	v_cndmask_b32_e32 v68, v1, v8, vcc
.LBB0_6:                                ;   in Loop: Header=BB0_2 Depth=1
	s_or_b64 exec, exec, s[2:3]
	v_mad_u64_u32 v[8:9], s[2:3], v68, s24, 0
	s_load_dwordx2 s[2:3], s[18:19], 0x0
	v_mul_lo_u32 v1, v69, s24
	v_mul_lo_u32 v3, v68, s25
	s_load_dwordx2 s[24:25], s[16:17], 0x0
	s_add_u32 s22, s22, 1
	v_add3_u32 v1, v9, v3, v1
	v_sub_co_u32_e32 v3, vcc, v6, v8
	s_addc_u32 s23, s23, 0
	s_nop 0
	v_subb_co_u32_e32 v1, vcc, v7, v1, vcc
	s_add_u32 s16, s16, 8
	s_waitcnt lgkmcnt(0)
	v_mul_lo_u32 v6, s2, v1
	v_mul_lo_u32 v7, s3, v3
	v_mad_u64_u32 v[4:5], s[2:3], s2, v3, v[4:5]
	s_addc_u32 s17, s17, 0
	v_add3_u32 v5, v7, v5, v6
	v_mul_lo_u32 v1, s24, v1
	v_mul_lo_u32 v6, s25, v3
	v_mad_u64_u32 v[64:65], s[2:3], s24, v3, v[64:65]
	s_add_u32 s18, s18, 8
	v_add3_u32 v65, v6, v65, v1
	s_addc_u32 s19, s19, 0
	v_mov_b64_e32 v[6:7], s[10:11]
	s_add_u32 s20, s20, 8
	v_cmp_ge_u64_e32 vcc, s[22:23], v[6:7]
	s_addc_u32 s21, s21, 0
	s_cbranch_vccnz .LBB0_9
; %bb.7:                                ;   in Loop: Header=BB0_2 Depth=1
	v_mov_b64_e32 v[6:7], v[68:69]
	s_branch .LBB0_2
.LBB0_8:
	v_mov_b64_e32 v[64:65], v[4:5]
	v_mov_b64_e32 v[68:69], v[6:7]
.LBB0_9:
	s_load_dwordx2 s[0:1], s[0:1], 0x28
	v_mul_hi_u32_u24_e32 v1, 0xca4588, v0
	v_mul_u32_u24_e32 v1, 0x144, v1
	s_lshl_b64 s[16:17], s[10:11], 3
	v_sub_u32_e32 v66, v0, v1
	s_movk_i32 s2, 0xf3
	s_add_u32 s10, s14, s16
	s_waitcnt lgkmcnt(0)
	v_cmp_gt_u64_e64 s[0:1], s[0:1], v[68:69]
	v_cmp_gt_u32_e64 s[2:3], s2, v66
	s_addc_u32 s11, s15, s17
	s_and_b64 s[18:19], s[0:1], s[2:3]
                                        ; implicit-def: $vgpr14_vgpr15
                                        ; implicit-def: $vgpr22_vgpr23
                                        ; implicit-def: $vgpr18_vgpr19
                                        ; implicit-def: $vgpr6_vgpr7
                                        ; implicit-def: $vgpr26_vgpr27
                                        ; implicit-def: $vgpr30_vgpr31
                                        ; implicit-def: $vgpr10_vgpr11
                                        ; implicit-def: $vgpr54_vgpr55
                                        ; implicit-def: $vgpr42_vgpr43
                                        ; implicit-def: $vgpr58_vgpr59
                                        ; implicit-def: $vgpr46_vgpr47
                                        ; implicit-def: $vgpr62_vgpr63
                                        ; implicit-def: $vgpr50_vgpr51
                                        ; implicit-def: $vgpr38_vgpr39
                                        ; implicit-def: $vgpr34_vgpr35
                                        ; implicit-def: $vgpr2_vgpr3
	s_and_saveexec_b64 s[14:15], s[18:19]
	s_cbranch_execz .LBB0_11
; %bb.10:
	s_add_u32 s12, s12, s16
	s_addc_u32 s13, s13, s17
	s_load_dwordx2 s[12:13], s[12:13], 0x0
	v_mov_b32_e32 v67, 0
	s_waitcnt lgkmcnt(0)
	v_mul_lo_u32 v2, s13, v68
	v_mul_lo_u32 v3, s12, v69
	v_mad_u64_u32 v[0:1], s[12:13], s12, v68, 0
	v_add3_u32 v1, v1, v3, v2
	v_lshl_add_u64 v[0:1], v[0:1], 4, s[4:5]
	v_lshl_add_u64 v[0:1], v[4:5], 4, v[0:1]
	;; [unrolled: 1-line block ×3, first 2 shown]
	s_movk_i32 s4, 0x1000
	v_add_co_u32_e32 v4, vcc, s4, v40
	s_movk_i32 s4, 0x2000
	s_nop 0
	v_addc_co_u32_e32 v5, vcc, 0, v41, vcc
	v_add_co_u32_e32 v6, vcc, s4, v40
	s_movk_i32 s4, 0x3000
	s_nop 0
	v_addc_co_u32_e32 v7, vcc, 0, v41, vcc
	;; [unrolled: 4-line block ×4, first 2 shown]
	global_load_dwordx4 v[0:3], v[40:41], off
	global_load_dwordx4 v[12:15], v[40:41], off offset:3888
	global_load_dwordx4 v[20:23], v[4:5], off offset:3680
	global_load_dwordx4 v[16:19], v[6:7], off offset:3472
	s_nop 0
	global_load_dwordx4 v[4:7], v[8:9], off offset:3264
	global_load_dwordx4 v[24:27], v[10:11], off offset:3056
	v_add_co_u32_e32 v8, vcc, s4, v40
	s_movk_i32 s4, 0x6000
	s_nop 0
	v_addc_co_u32_e32 v9, vcc, 0, v41, vcc
	v_add_co_u32_e32 v10, vcc, s4, v40
	s_movk_i32 s4, 0x7000
	s_nop 0
	v_addc_co_u32_e32 v11, vcc, 0, v41, vcc
	v_add_co_u32_e32 v42, vcc, s4, v40
	s_mov_b32 s4, 0x8000
	s_nop 0
	v_addc_co_u32_e32 v43, vcc, 0, v41, vcc
	v_add_co_u32_e32 v44, vcc, s4, v40
	s_mov_b32 s4, 0x9000
	;; [unrolled: 4-line block ×6, first 2 shown]
	s_nop 0
	v_addc_co_u32_e32 v77, vcc, 0, v41, vcc
	v_add_co_u32_e32 v78, vcc, s4, v40
	global_load_dwordx4 v[32:35], v[8:9], off offset:2848
	global_load_dwordx4 v[28:31], v[10:11], off offset:2640
	v_addc_co_u32_e32 v79, vcc, 0, v41, vcc
	v_add_co_u32_e32 v80, vcc, 0xe000, v40
	global_load_dwordx4 v[8:11], v[42:43], off offset:2432
	global_load_dwordx4 v[36:39], v[44:45], off offset:2224
	v_addc_co_u32_e32 v81, vcc, 0, v41, vcc
	global_load_dwordx4 v[52:55], v[70:71], off offset:2016
	global_load_dwordx4 v[40:43], v[72:73], off offset:1808
	;; [unrolled: 1-line block ×6, first 2 shown]
.LBB0_11:
	s_or_b64 exec, exec, s[14:15]
	s_waitcnt vmcnt(5)
	v_add_f64 v[54:55], v[22:23], -v[54:55]
	v_add_f64 v[70:71], v[20:21], -v[52:53]
	v_fma_f64 v[52:53], v[22:23], 2.0, -v[54:55]
	s_waitcnt vmcnt(1)
	v_add_f64 v[22:23], v[32:33], -v[60:61]
	v_add_f64 v[38:39], v[14:15], -v[38:39]
	;; [unrolled: 1-line block ×3, first 2 shown]
	v_fma_f64 v[20:21], v[20:21], 2.0, -v[70:71]
	v_add_f64 v[60:61], v[34:35], -v[62:63]
	v_fma_f64 v[32:33], v[32:33], 2.0, -v[22:23]
	v_add_f64 v[36:37], v[12:13], -v[36:37]
	;; [unrolled: 2-line block ×4, first 2 shown]
	v_add_f64 v[42:43], v[18:19], -v[42:43]
	s_waitcnt vmcnt(0)
	v_add_f64 v[74:75], v[28:29], -v[48:49]
	v_add_f64 v[50:51], v[30:31], -v[50:51]
	v_fma_f64 v[34:35], v[34:35], 2.0, -v[60:61]
	v_fma_f64 v[12:13], v[12:13], 2.0, -v[36:37]
	;; [unrolled: 1-line block ×7, first 2 shown]
	v_add_f64 v[44:45], v[20:21], -v[32:33]
	v_add_f64 v[32:33], v[70:71], -v[60:61]
	v_add_f64 v[26:27], v[14:15], -v[26:27]
	v_add_f64 v[48:49], v[52:53], -v[34:35]
	v_fma_f64 v[34:35], v[70:71], 2.0, -v[32:33]
	v_add_f64 v[24:25], v[12:13], -v[24:25]
	v_fma_f64 v[46:47], v[14:15], 2.0, -v[26:27]
	v_add_f64 v[14:15], v[36:37], -v[72:73]
	v_add_f64 v[70:71], v[62:63], v[38:39]
	v_add_f64 v[28:29], v[16:17], -v[28:29]
	v_add_f64 v[30:31], v[18:19], -v[30:31]
	;; [unrolled: 1-line block ×3, first 2 shown]
	v_add_f64 v[84:85], v[42:43], v[74:75]
	s_mov_b32 s4, 0x667f3bcd
	v_fma_f64 v[12:13], v[12:13], 2.0, -v[24:25]
	v_fma_f64 v[60:61], v[36:37], 2.0, -v[14:15]
	;; [unrolled: 1-line block ×7, first 2 shown]
	s_mov_b32 s5, 0x3fe6a09e
	s_mov_b32 s13, 0xbfe6a09e
	;; [unrolled: 1-line block ×3, first 2 shown]
	v_add_f64 v[22:23], v[54:55], v[22:23]
	v_mul_f64 v[80:81], v[34:35], s[4:5]
	v_mul_f64 v[62:63], v[32:33], s[4:5]
	v_add_f64 v[36:37], v[12:13], -v[16:17]
	v_add_f64 v[72:73], v[46:47], -v[18:19]
	v_fma_f64 v[32:33], s[12:13], v[40:41], v[60:61]
	v_fma_f64 v[38:39], s[12:13], v[42:43], v[78:79]
	v_add_f64 v[16:17], v[24:25], -v[30:31]
	v_add_f64 v[18:19], v[28:29], v[26:27]
	v_fma_f64 v[30:31], s[4:5], v[50:51], v[14:15]
	v_fma_f64 v[34:35], s[4:5], v[84:85], v[70:71]
	v_fma_f64 v[54:55], v[54:55], 2.0, -v[22:23]
	v_mul_f64 v[76:77], v[22:23], s[4:5]
	v_fmac_f64_e32 v[32:33], s[12:13], v[42:43]
	v_fmac_f64_e32 v[38:39], s[4:5], v[40:41]
	v_fma_f64 v[22:23], v[24:25], 2.0, -v[16:17]
	v_fma_f64 v[24:25], v[26:27], 2.0, -v[18:19]
	v_fmac_f64_e32 v[30:31], s[12:13], v[84:85]
	v_fmac_f64_e32 v[34:35], s[4:5], v[50:51]
	v_add_f64 v[56:57], v[4:5], -v[56:57]
	v_add_f64 v[58:59], v[6:7], -v[58:59]
	v_mul_f64 v[82:83], v[54:55], s[4:5]
	v_fma_f64 v[60:61], v[60:61], 2.0, -v[32:33]
	v_fma_f64 v[74:75], v[78:79], 2.0, -v[38:39]
	v_fma_f64 v[50:51], v[14:15], 2.0, -v[30:31]
	v_fma_f64 v[54:55], v[70:71], 2.0, -v[34:35]
	v_mul_f64 v[70:71], v[22:23], s[4:5]
	v_mul_f64 v[78:79], v[24:25], s[4:5]
	v_mul_f64 v[40:41], v[16:17], s[4:5]
	v_mul_f64 v[42:43], v[18:19], s[4:5]
	s_and_saveexec_b64 s[4:5], s[2:3]
	s_cbranch_execz .LBB0_13
; %bb.12:
	v_add_f64 v[8:9], v[0:1], -v[8:9]
	v_add_f64 v[24:25], v[8:9], -v[58:59]
	v_add_f64 v[14:15], v[62:63], v[24:25]
	v_fma_f64 v[0:1], v[0:1], 2.0, -v[8:9]
	v_fma_f64 v[8:9], v[8:9], 2.0, -v[24:25]
	v_add_f64 v[28:29], v[14:15], -v[76:77]
	v_fma_f64 v[4:5], v[4:5], 2.0, -v[56:57]
	v_add_f64 v[14:15], v[8:9], -v[80:81]
	s_mov_b32 s15, 0x3fed906b
	s_mov_b32 s14, 0xcf328d46
	v_add_f64 v[4:5], v[0:1], -v[4:5]
	v_add_f64 v[84:85], v[14:15], -v[82:83]
	s_mov_b32 s12, 0xa6aea964
	v_fma_f64 v[14:15], s[14:15], v[30:31], v[28:29]
	s_mov_b32 s15, 0xbfed906b
	v_fma_f64 v[0:1], v[0:1], 2.0, -v[4:5]
	v_fma_f64 v[16:17], v[20:21], 2.0, -v[44:45]
	;; [unrolled: 1-line block ×3, first 2 shown]
	s_mov_b32 s13, 0xbfd87de2
	v_add_f64 v[88:89], v[0:1], -v[16:17]
	v_fma_f64 v[18:19], s[14:15], v[60:61], v[8:9]
	v_fma_f64 v[0:1], v[0:1], 2.0, -v[88:89]
	v_fma_f64 v[12:13], v[12:13], 2.0, -v[36:37]
	v_fmac_f64_e32 v[18:19], s[12:13], v[74:75]
	v_add_f64 v[16:17], v[0:1], -v[12:13]
	v_fma_f64 v[22:23], v[8:9], 2.0, -v[18:19]
	v_add_f64 v[8:9], v[4:5], -v[48:49]
	v_fma_f64 v[20:21], v[0:1], 2.0, -v[16:17]
	v_lshl_add_u32 v67, v66, 7, 0
	v_fma_f64 v[0:1], v[24:25], 2.0, -v[28:29]
	v_fma_f64 v[4:5], v[4:5], 2.0, -v[8:9]
	ds_write_b128 v67, v[20:23]
	v_add_f64 v[12:13], v[4:5], -v[70:71]
	v_fma_f64 v[22:23], s[12:13], v[50:51], v[0:1]
	v_add_f64 v[20:21], v[12:13], -v[78:79]
	v_fmac_f64_e32 v[22:23], s[14:15], v[54:55]
	v_fma_f64 v[26:27], v[0:1], 2.0, -v[22:23]
	v_fma_f64 v[24:25], v[4:5], 2.0, -v[20:21]
	s_mov_b32 s17, 0x3fd87de2
	s_mov_b32 s16, s12
	ds_write_b128 v67, v[24:27] offset:16
	v_fma_f64 v[26:27], s[16:17], v[32:33], v[84:85]
	v_fmac_f64_e32 v[26:27], s[14:15], v[38:39]
	v_add_f64 v[24:25], v[88:89], -v[72:73]
	v_add_f64 v[0:1], v[40:41], v[8:9]
	v_fma_f64 v[86:87], v[84:85], 2.0, -v[26:27]
	v_fma_f64 v[84:85], v[88:89], 2.0, -v[24:25]
	v_add_f64 v[12:13], v[0:1], -v[42:43]
	v_fmac_f64_e32 v[14:15], s[12:13], v[34:35]
	ds_write_b128 v67, v[84:87] offset:32
	v_fma_f64 v[86:87], v[28:29], 2.0, -v[14:15]
	v_fma_f64 v[84:85], v[8:9], 2.0, -v[12:13]
	ds_write_b128 v67, v[84:87] offset:48
	ds_write_b128 v67, v[16:19] offset:64
	;; [unrolled: 1-line block ×5, first 2 shown]
.LBB0_13:
	s_or_b64 exec, exec, s[4:5]
	v_add_u32_e32 v87, 0x3cc, v66
	v_lshl_add_u32 v67, v66, 3, 0
	v_add_u32_e32 v86, 0x288, v66
	v_lshl_add_u32 v85, v87, 3, 0
	s_waitcnt lgkmcnt(0)
	s_barrier
	ds_read_b64 v[4:5], v67
	ds_read_b64 v[14:15], v67 offset:12960
	ds_read_b64 v[28:29], v67 offset:10368
	;; [unrolled: 1-line block ×4, first 2 shown]
	v_lshl_add_u32 v84, v86, 3, 0
	ds_read_b64 v[24:25], v67 offset:15552
	ds_read_b64 v[22:23], v67 offset:25920
	ds_read_b64 v[0:1], v85
	ds_read_b64 v[26:27], v67 offset:20736
	ds_read_b64 v[20:21], v67 offset:18144
	ds_read_b64 v[12:13], v84
	ds_read_b64 v[18:19], v67 offset:28512
	s_waitcnt lgkmcnt(0)
	s_barrier
	s_and_saveexec_b64 s[4:5], s[2:3]
	s_cbranch_execz .LBB0_15
; %bb.14:
	v_add_f64 v[10:11], v[2:3], -v[10:11]
	v_fma_f64 v[2:3], v[2:3], 2.0, -v[10:11]
	v_fma_f64 v[6:7], v[6:7], 2.0, -v[58:59]
	v_add_f64 v[6:7], v[2:3], -v[6:7]
	v_add_f64 v[56:57], v[56:57], v[10:11]
	v_fma_f64 v[2:3], v[2:3], 2.0, -v[6:7]
	v_fma_f64 v[10:11], v[10:11], 2.0, -v[56:57]
	;; [unrolled: 1-line block ×3, first 2 shown]
	v_add_f64 v[88:89], v[2:3], -v[48:49]
	v_add_f64 v[48:49], v[10:11], -v[82:83]
	v_add_f64 v[82:83], v[44:45], v[6:7]
	v_add_f64 v[44:45], v[56:57], v[76:77]
	v_fma_f64 v[2:3], v[2:3], 2.0, -v[88:89]
	v_add_f64 v[80:81], v[80:81], v[48:49]
	v_add_f64 v[76:77], v[62:63], v[44:45]
	v_fma_f64 v[44:45], v[46:47], 2.0, -v[72:73]
	s_mov_b32 s12, 0xa6aea964
	v_fma_f64 v[10:11], v[10:11], 2.0, -v[80:81]
	v_fma_f64 v[6:7], v[6:7], 2.0, -v[82:83]
	;; [unrolled: 1-line block ×3, first 2 shown]
	v_add_f64 v[44:45], v[2:3], -v[44:45]
	s_mov_b32 s3, 0xbfed906b
	s_mov_b32 s2, 0xcf328d46
	s_mov_b32 s13, 0x3fd87de2
	s_mov_b32 s15, 0xbfd87de2
	s_mov_b32 s14, s12
	v_fma_f64 v[56:57], v[2:3], 2.0, -v[44:45]
	v_fma_f64 v[46:47], s[2:3], v[74:75], v[10:11]
	v_add_f64 v[2:3], v[6:7], -v[78:79]
	v_fma_f64 v[54:55], s[14:15], v[54:55], v[62:63]
	s_mov_b32 s3, 0x3fed906b
	v_fma_f64 v[38:39], s[12:13], v[38:39], v[80:81]
	v_fmac_f64_e32 v[46:47], s[12:13], v[60:61]
	v_add_f64 v[52:53], v[70:71], v[2:3]
	v_fmac_f64_e32 v[54:55], s[2:3], v[50:51]
	v_fmac_f64_e32 v[38:39], s[2:3], v[32:33]
	v_add_f64 v[2:3], v[42:43], v[82:83]
	v_fma_f64 v[34:35], s[2:3], v[34:35], v[76:77]
	s_movk_i32 s2, 0x78
	v_fma_f64 v[58:59], v[10:11], 2.0, -v[46:47]
	v_add_f64 v[36:37], v[36:37], v[88:89]
	v_add_f64 v[32:33], v[40:41], v[2:3]
	v_fmac_f64_e32 v[34:35], s[12:13], v[30:31]
	v_mad_u32_u24 v2, v66, s2, v67
	v_fma_f64 v[48:49], v[6:7], 2.0, -v[52:53]
	v_fma_f64 v[50:51], v[62:63], 2.0, -v[54:55]
	v_fma_f64 v[60:61], v[88:89], 2.0, -v[36:37]
	v_fma_f64 v[62:63], v[80:81], 2.0, -v[38:39]
	v_fma_f64 v[40:41], v[82:83], 2.0, -v[32:33]
	v_fma_f64 v[42:43], v[76:77], 2.0, -v[34:35]
	ds_write_b128 v2, v[56:59]
	ds_write_b128 v2, v[48:51] offset:16
	ds_write_b128 v2, v[60:63] offset:32
	;; [unrolled: 1-line block ×7, first 2 shown]
.LBB0_15:
	s_or_b64 exec, exec, s[4:5]
	v_and_b32_e32 v31, 15, v66
	v_lshlrev_b32_e32 v2, 5, v31
	s_load_dwordx2 s[2:3], s[10:11], 0x0
	s_waitcnt lgkmcnt(0)
	s_barrier
	global_load_dwordx4 v[32:35], v2, s[8:9]
	global_load_dwordx4 v[36:39], v2, s[8:9] offset:16
	v_and_b32_e32 v90, 15, v86
	v_lshlrev_b32_e32 v2, 5, v90
	v_and_b32_e32 v91, 15, v87
	v_add_u32_e32 v30, 0x144, v66
	global_load_dwordx4 v[40:43], v2, s[8:9]
	global_load_dwordx4 v[44:47], v2, s[8:9] offset:16
	v_lshlrev_b32_e32 v2, 5, v91
	v_and_b32_e32 v92, 15, v30
	global_load_dwordx4 v[48:51], v2, s[8:9]
	global_load_dwordx4 v[52:55], v2, s[8:9] offset:16
	v_lshlrev_b32_e32 v2, 5, v92
	global_load_dwordx4 v[56:59], v2, s[8:9]
	global_load_dwordx4 v[60:63], v2, s[8:9] offset:16
	ds_read_b64 v[10:11], v67
	ds_read_b64 v[2:3], v67 offset:12960
	ds_read_b64 v[6:7], v67 offset:10368
	;; [unrolled: 1-line block ×8, first 2 shown]
	s_mov_b32 s4, 0xe8584caa
	s_mov_b32 s5, 0x3febb67a
	;; [unrolled: 1-line block ×5, first 2 shown]
	s_movk_i32 s13, 0x480
	s_movk_i32 s14, 0x1000
	;; [unrolled: 1-line block ×3, first 2 shown]
	s_waitcnt vmcnt(7) lgkmcnt(6)
	v_mul_f64 v[82:83], v[6:7], v[34:35]
	v_mul_f64 v[34:35], v[28:29], v[34:35]
	v_fma_f64 v[28:29], v[28:29], v[32:33], -v[82:83]
	v_fmac_f64_e32 v[34:35], v[6:7], v[32:33]
	ds_read_b64 v[32:33], v85
	ds_read_b64 v[82:83], v84
	ds_read_b64 v[6:7], v67 offset:28512
	s_waitcnt vmcnt(6) lgkmcnt(4)
	v_mul_f64 v[88:89], v[78:79], v[38:39]
	v_mul_f64 v[38:39], v[26:27], v[38:39]
	v_fma_f64 v[26:27], v[26:27], v[36:37], -v[88:89]
	s_waitcnt vmcnt(5)
	v_mul_f64 v[88:89], v[72:73], v[42:43]
	v_fmac_f64_e32 v[38:39], v[78:79], v[36:37]
	v_mul_f64 v[36:37], v[24:25], v[42:43]
	s_waitcnt vmcnt(4)
	v_mul_f64 v[42:43], v[74:75], v[46:47]
	v_mul_f64 v[46:47], v[22:23], v[46:47]
	v_fma_f64 v[24:25], v[24:25], v[40:41], -v[88:89]
	s_waitcnt vmcnt(3) lgkmcnt(3)
	v_mul_f64 v[78:79], v[80:81], v[50:51]
	v_fmac_f64_e32 v[36:37], v[72:73], v[40:41]
	v_mul_f64 v[40:41], v[20:21], v[50:51]
	s_waitcnt vmcnt(2) lgkmcnt(0)
	v_mul_f64 v[50:51], v[6:7], v[54:55]
	v_mul_f64 v[54:55], v[18:19], v[54:55]
	v_fma_f64 v[22:23], v[22:23], v[44:45], -v[42:43]
	v_fmac_f64_e32 v[46:47], v[74:75], v[44:45]
	v_fma_f64 v[20:21], v[20:21], v[48:49], -v[78:79]
	s_waitcnt vmcnt(1)
	v_mul_f64 v[42:43], v[2:3], v[58:59]
	v_fmac_f64_e32 v[40:41], v[80:81], v[48:49]
	v_mul_f64 v[44:45], v[14:15], v[58:59]
	s_waitcnt vmcnt(0)
	v_mul_f64 v[48:49], v[76:77], v[62:63]
	v_mul_f64 v[58:59], v[16:17], v[62:63]
	v_fmac_f64_e32 v[54:55], v[6:7], v[52:53]
	v_fma_f64 v[6:7], v[14:15], v[56:57], -v[42:43]
	v_fmac_f64_e32 v[44:45], v[2:3], v[56:57]
	v_fma_f64 v[2:3], v[16:17], v[60:61], -v[48:49]
	v_add_f64 v[16:17], v[28:29], v[26:27]
	v_add_f64 v[42:43], v[34:35], -v[38:39]
	v_add_f64 v[48:49], v[10:11], v[34:35]
	v_add_f64 v[34:35], v[34:35], v[38:39]
	v_fmac_f64_e32 v[58:59], v[76:77], v[60:61]
	v_add_f64 v[14:15], v[4:5], v[28:29]
	v_add_f64 v[28:29], v[28:29], -v[26:27]
	v_fmac_f64_e32 v[4:5], -0.5, v[16:17]
	v_fmac_f64_e32 v[10:11], -0.5, v[34:35]
	v_add_f64 v[34:35], v[6:7], v[2:3]
	v_add_f64 v[14:15], v[14:15], v[26:27]
	;; [unrolled: 1-line block ×4, first 2 shown]
	v_fma_f64 v[38:39], s[4:5], v[42:43], v[4:5]
	v_fmac_f64_e32 v[4:5], s[10:11], v[42:43]
	v_fma_f64 v[42:43], s[10:11], v[28:29], v[10:11]
	v_fmac_f64_e32 v[10:11], s[4:5], v[28:29]
	v_fmac_f64_e32 v[8:9], -0.5, v[34:35]
	v_add_f64 v[28:29], v[44:45], -v[58:59]
	v_fma_f64 v[34:35], s[4:5], v[28:29], v[8:9]
	v_fmac_f64_e32 v[8:9], s[10:11], v[28:29]
	v_add_f64 v[28:29], v[70:71], v[44:45]
	v_add_f64 v[44:45], v[44:45], v[58:59]
	;; [unrolled: 1-line block ×3, first 2 shown]
	v_fmac_f64_e32 v[70:71], -0.5, v[44:45]
	v_add_f64 v[2:3], v[6:7], -v[2:3]
	v_add_f64 v[6:7], v[24:25], v[22:23]
	v_fma_f64 v[44:45], s[10:11], v[2:3], v[70:71]
	v_fmac_f64_e32 v[70:71], s[4:5], v[2:3]
	v_add_f64 v[2:3], v[12:13], v[24:25]
	v_fmac_f64_e32 v[12:13], -0.5, v[6:7]
	v_add_f64 v[6:7], v[36:37], -v[46:47]
	v_fma_f64 v[48:49], s[4:5], v[6:7], v[12:13]
	v_fmac_f64_e32 v[12:13], s[10:11], v[6:7]
	v_add_f64 v[6:7], v[82:83], v[36:37]
	v_fma_f64 v[18:19], v[18:19], v[52:53], -v[50:51]
	v_add_f64 v[50:51], v[6:7], v[46:47]
	v_add_f64 v[6:7], v[36:37], v[46:47]
	v_fmac_f64_e32 v[82:83], -0.5, v[6:7]
	v_add_f64 v[6:7], v[24:25], -v[22:23]
	v_add_f64 v[24:25], v[20:21], v[18:19]
	v_add_f64 v[2:3], v[2:3], v[22:23]
	v_fma_f64 v[22:23], s[10:11], v[6:7], v[82:83]
	v_fmac_f64_e32 v[82:83], s[4:5], v[6:7]
	v_add_f64 v[6:7], v[0:1], v[20:21]
	v_fmac_f64_e32 v[0:1], -0.5, v[24:25]
	v_add_f64 v[24:25], v[40:41], -v[54:55]
	v_fma_f64 v[36:37], s[4:5], v[24:25], v[0:1]
	v_fmac_f64_e32 v[0:1], s[10:11], v[24:25]
	v_add_f64 v[24:25], v[32:33], v[40:41]
	v_add_f64 v[40:41], v[40:41], v[54:55]
	;; [unrolled: 1-line block ×3, first 2 shown]
	v_fmac_f64_e32 v[32:33], -0.5, v[40:41]
	v_add_f64 v[18:19], v[20:21], -v[18:19]
	v_fma_f64 v[20:21], s[10:11], v[18:19], v[32:33]
	v_fmac_f64_e32 v[32:33], s[4:5], v[18:19]
	v_lshrrev_b32_e32 v18, 4, v66
	v_mul_u32_u24_e32 v18, 48, v18
	v_or_b32_e32 v18, v18, v31
	v_lshl_add_u32 v18, v18, 3, 0
	s_barrier
	ds_write2_b64 v18, v[14:15], v[38:39] offset1:16
	ds_write_b64 v18, v[4:5] offset:256
	v_lshrrev_b32_e32 v4, 4, v30
	v_mul_u32_u24_e32 v4, 48, v4
	v_or_b32_e32 v4, v4, v92
	v_lshl_add_u32 v14, v4, 3, 0
	v_lshrrev_b32_e32 v4, 4, v86
	v_mul_u32_u24_e32 v4, 48, v4
	v_or_b32_e32 v4, v4, v90
	ds_write2_b64 v14, v[26:27], v[34:35] offset1:16
	ds_write_b64 v14, v[8:9] offset:256
	v_lshl_add_u32 v8, v4, 3, 0
	ds_write2_b64 v8, v[2:3], v[48:49] offset1:16
	ds_write_b64 v8, v[12:13] offset:256
	v_lshrrev_b32_e32 v2, 4, v87
	v_mul_u32_u24_e32 v2, 48, v2
	v_or_b32_e32 v2, v2, v91
	v_lshl_add_u32 v9, v2, 3, 0
	v_add_f64 v[28:29], v[28:29], v[58:59]
	v_add_f64 v[24:25], v[24:25], v[54:55]
	ds_write2_b64 v9, v[6:7], v[36:37] offset1:16
	ds_write_b64 v9, v[0:1] offset:256
	s_waitcnt lgkmcnt(0)
	s_barrier
	ds_read_b64 v[0:1], v67
	ds_read_b64 v[46:47], v67 offset:12960
	ds_read_b64 v[48:49], v67 offset:10368
	ds_read_b64 v[4:5], v67 offset:2592
	ds_read_b64 v[52:53], v67 offset:15552
	ds_read_b64 v[54:55], v67 offset:25920
	ds_read_b64 v[56:57], v67 offset:23328
	ds_read_b64 v[58:59], v67 offset:20736
	ds_read_b64 v[60:61], v67 offset:18144
	ds_read_b64 v[2:3], v85
	ds_read_b64 v[6:7], v84
	ds_read_b64 v[62:63], v67 offset:28512
	s_waitcnt lgkmcnt(0)
	s_barrier
	ds_write2_b64 v18, v[16:17], v[42:43] offset1:16
	ds_write_b64 v18, v[10:11] offset:256
	ds_write2_b64 v14, v[28:29], v[44:45] offset1:16
	ds_write_b64 v14, v[70:71] offset:256
	;; [unrolled: 2-line block ×4, first 2 shown]
	v_mul_u32_u24_sdwa v8, v66, s12 dst_sel:DWORD dst_unused:UNUSED_PAD src0_sel:WORD_0 src1_sel:DWORD
	v_lshrrev_b32_e32 v31, 21, v8
	v_mul_lo_u16_e32 v8, 48, v31
	v_sub_u16_e32 v78, v66, v8
	v_lshlrev_b32_e32 v16, 5, v78
	s_waitcnt lgkmcnt(0)
	s_barrier
	global_load_dwordx4 v[8:11], v16, s[8:9] offset:512
	global_load_dwordx4 v[12:15], v16, s[8:9] offset:528
	v_mul_u32_u24_sdwa v16, v30, s12 dst_sel:DWORD dst_unused:UNUSED_PAD src0_sel:WORD_0 src1_sel:DWORD
	v_lshrrev_b32_e32 v79, 21, v16
	v_mul_lo_u16_e32 v16, 48, v79
	v_sub_u16_e32 v80, v30, v16
	v_lshlrev_b32_e32 v24, 5, v80
	global_load_dwordx4 v[16:19], v24, s[8:9] offset:512
	global_load_dwordx4 v[20:23], v24, s[8:9] offset:528
	v_mul_u32_u24_sdwa v24, v86, s12 dst_sel:DWORD dst_unused:UNUSED_PAD src0_sel:WORD_0 src1_sel:DWORD
	v_lshrrev_b32_e32 v81, 21, v24
	v_mul_lo_u16_e32 v24, 48, v81
	v_sub_u16_e32 v82, v86, v24
	v_lshlrev_b32_e32 v28, 5, v82
	;; [unrolled: 7-line block ×3, first 2 shown]
	global_load_dwordx4 v[36:39], v28, s[8:9] offset:512
	global_load_dwordx4 v[40:43], v28, s[8:9] offset:528
	ds_read_b64 v[28:29], v67 offset:10368
	ds_read_b64 v[44:45], v67
	ds_read_b64 v[50:51], v67 offset:12960
	ds_read_b64 v[70:71], v67 offset:2592
	s_mov_b32 s12, 0x5040100
	s_waitcnt vmcnt(7) lgkmcnt(3)
	v_mul_f64 v[72:73], v[28:29], v[10:11]
	v_fma_f64 v[72:73], v[48:49], v[8:9], -v[72:73]
	v_mul_f64 v[10:11], v[48:49], v[10:11]
	ds_read_b64 v[48:49], v67 offset:20736
	v_fmac_f64_e32 v[10:11], v[28:29], v[8:9]
	ds_read_b64 v[8:9], v67 offset:23328
	ds_read_b64 v[28:29], v67 offset:15552
	;; [unrolled: 1-line block ×3, first 2 shown]
	s_waitcnt vmcnt(6) lgkmcnt(3)
	v_mul_f64 v[76:77], v[48:49], v[14:15]
	v_mul_f64 v[14:15], v[58:59], v[14:15]
	v_fma_f64 v[76:77], v[58:59], v[12:13], -v[76:77]
	v_fmac_f64_e32 v[14:15], v[48:49], v[12:13]
	ds_read_b64 v[12:13], v67 offset:25920
	s_waitcnt vmcnt(5)
	v_mul_f64 v[48:49], v[50:51], v[18:19]
	v_mul_f64 v[18:19], v[46:47], v[18:19]
	v_fma_f64 v[48:49], v[46:47], v[16:17], -v[48:49]
	v_fmac_f64_e32 v[18:19], v[50:51], v[16:17]
	s_waitcnt vmcnt(4) lgkmcnt(3)
	v_mul_f64 v[16:17], v[8:9], v[22:23]
	v_mul_f64 v[22:23], v[56:57], v[22:23]
	v_fma_f64 v[16:17], v[56:57], v[20:21], -v[16:17]
	v_fmac_f64_e32 v[22:23], v[8:9], v[20:21]
	ds_read_b64 v[8:9], v85
	ds_read_b64 v[20:21], v84
	ds_read_b64 v[46:47], v67 offset:28512
	s_waitcnt vmcnt(3) lgkmcnt(5)
	v_mul_f64 v[50:51], v[28:29], v[26:27]
	v_mul_f64 v[26:27], v[52:53], v[26:27]
	v_fma_f64 v[50:51], v[52:53], v[24:25], -v[50:51]
	v_fmac_f64_e32 v[26:27], v[28:29], v[24:25]
	s_waitcnt vmcnt(2) lgkmcnt(3)
	v_mul_f64 v[24:25], v[12:13], v[34:35]
	v_mul_f64 v[28:29], v[54:55], v[34:35]
	v_fma_f64 v[24:25], v[54:55], v[32:33], -v[24:25]
	v_fmac_f64_e32 v[28:29], v[12:13], v[32:33]
	s_waitcnt vmcnt(1)
	v_mul_f64 v[12:13], v[74:75], v[38:39]
	v_mul_f64 v[32:33], v[60:61], v[38:39]
	v_fma_f64 v[12:13], v[60:61], v[36:37], -v[12:13]
	v_fmac_f64_e32 v[32:33], v[74:75], v[36:37]
	s_waitcnt vmcnt(0) lgkmcnt(0)
	v_mul_f64 v[34:35], v[46:47], v[42:43]
	v_mul_f64 v[36:37], v[62:63], v[42:43]
	v_fma_f64 v[34:35], v[62:63], v[40:41], -v[34:35]
	v_fmac_f64_e32 v[36:37], v[46:47], v[40:41]
	v_add_f64 v[40:41], v[72:73], v[76:77]
	v_add_f64 v[38:39], v[0:1], v[72:73]
	v_fmac_f64_e32 v[0:1], -0.5, v[40:41]
	v_add_f64 v[40:41], v[10:11], -v[14:15]
	v_fma_f64 v[42:43], s[4:5], v[40:41], v[0:1]
	v_fmac_f64_e32 v[0:1], s[10:11], v[40:41]
	v_add_f64 v[40:41], v[44:45], v[10:11]
	v_add_f64 v[10:11], v[10:11], v[14:15]
	v_fmac_f64_e32 v[44:45], -0.5, v[10:11]
	v_add_f64 v[10:11], v[72:73], -v[76:77]
	v_add_f64 v[46:47], v[48:49], v[16:17]
	v_add_f64 v[40:41], v[40:41], v[14:15]
	v_fma_f64 v[14:15], s[10:11], v[10:11], v[44:45]
	v_fmac_f64_e32 v[44:45], s[4:5], v[10:11]
	v_add_f64 v[10:11], v[4:5], v[48:49]
	v_fmac_f64_e32 v[4:5], -0.5, v[46:47]
	v_add_f64 v[46:47], v[18:19], -v[22:23]
	v_fma_f64 v[52:53], s[4:5], v[46:47], v[4:5]
	v_fmac_f64_e32 v[4:5], s[10:11], v[46:47]
	v_add_f64 v[46:47], v[70:71], v[18:19]
	v_add_f64 v[18:19], v[18:19], v[22:23]
	;; [unrolled: 1-line block ×4, first 2 shown]
	v_fmac_f64_e32 v[70:71], -0.5, v[18:19]
	v_add_f64 v[16:17], v[48:49], -v[16:17]
	v_add_f64 v[22:23], v[50:51], v[24:25]
	v_fma_f64 v[18:19], s[10:11], v[16:17], v[70:71]
	v_fmac_f64_e32 v[70:71], s[4:5], v[16:17]
	v_add_f64 v[16:17], v[6:7], v[50:51]
	v_fmac_f64_e32 v[6:7], -0.5, v[22:23]
	v_add_f64 v[22:23], v[26:27], -v[28:29]
	v_fma_f64 v[48:49], s[4:5], v[22:23], v[6:7]
	v_fmac_f64_e32 v[6:7], s[10:11], v[22:23]
	v_add_f64 v[22:23], v[20:21], v[26:27]
	v_add_f64 v[26:27], v[26:27], v[28:29]
	;; [unrolled: 1-line block ×4, first 2 shown]
	v_fmac_f64_e32 v[20:21], -0.5, v[26:27]
	v_add_f64 v[24:25], v[50:51], -v[24:25]
	v_add_f64 v[28:29], v[12:13], v[34:35]
	v_fma_f64 v[26:27], s[10:11], v[24:25], v[20:21]
	v_fmac_f64_e32 v[20:21], s[4:5], v[24:25]
	v_add_f64 v[24:25], v[2:3], v[12:13]
	v_fmac_f64_e32 v[2:3], -0.5, v[28:29]
	v_add_f64 v[28:29], v[32:33], -v[36:37]
	v_fma_f64 v[50:51], s[4:5], v[28:29], v[2:3]
	v_fmac_f64_e32 v[2:3], s[10:11], v[28:29]
	v_add_f64 v[28:29], v[8:9], v[32:33]
	v_add_f64 v[32:33], v[32:33], v[36:37]
	v_fmac_f64_e32 v[8:9], -0.5, v[32:33]
	v_add_f64 v[12:13], v[12:13], -v[34:35]
	v_fma_f64 v[32:33], s[10:11], v[12:13], v[8:9]
	v_fmac_f64_e32 v[8:9], s[4:5], v[12:13]
	v_perm_b32 v12, v79, v31, s12
	v_pk_mul_lo_u16 v12, v12, s13 op_sel_hi:[1,0]
	v_lshlrev_b32_e32 v31, 3, v78
	v_and_b32_e32 v13, 0xff80, v12
	v_add_f64 v[38:39], v[38:39], v[76:77]
	v_add3_u32 v13, 0, v13, v31
	s_barrier
	ds_write2_b64 v13, v[38:39], v[42:43] offset1:48
	ds_write_b64 v13, v[0:1] offset:768
	v_lshrrev_b32_e32 v0, 16, v12
	v_lshlrev_b32_e32 v1, 3, v80
	v_add3_u32 v12, 0, v0, v1
	v_mul_u32_u24_e32 v0, 0x480, v81
	v_lshlrev_b32_e32 v1, 3, v82
	ds_write2_b64 v12, v[10:11], v[52:53] offset1:48
	ds_write_b64 v12, v[4:5] offset:768
	v_add3_u32 v10, 0, v0, v1
	v_mul_u32_u24_e32 v0, 0x480, v83
	v_lshlrev_b32_e32 v1, 3, v88
	v_add_f64 v[24:25], v[24:25], v[34:35]
	v_add3_u32 v11, 0, v0, v1
	s_mov_b32 s13, 0xe38f
	v_add_f64 v[28:29], v[28:29], v[36:37]
	ds_write2_b64 v10, v[16:17], v[48:49] offset1:48
	ds_write_b64 v10, v[6:7] offset:768
	ds_write2_b64 v11, v[24:25], v[50:51] offset1:48
	ds_write_b64 v11, v[2:3] offset:768
	s_waitcnt lgkmcnt(0)
	s_barrier
	ds_read_b64 v[2:3], v67
	ds_read_b64 v[48:49], v67 offset:12960
	ds_read_b64 v[50:51], v67 offset:10368
	;; [unrolled: 1-line block ×8, first 2 shown]
	ds_read_b64 v[0:1], v85
	ds_read_b64 v[6:7], v84
	ds_read_b64 v[62:63], v67 offset:28512
	s_waitcnt lgkmcnt(0)
	s_barrier
	ds_write2_b64 v13, v[40:41], v[14:15] offset1:48
	ds_write_b64 v13, v[44:45] offset:768
	ds_write2_b64 v12, v[46:47], v[18:19] offset1:48
	ds_write_b64 v12, v[70:71] offset:768
	;; [unrolled: 2-line block ×4, first 2 shown]
	v_mul_u32_u24_sdwa v8, v66, s13 dst_sel:DWORD dst_unused:UNUSED_PAD src0_sel:WORD_0 src1_sel:DWORD
	v_lshrrev_b32_e32 v31, 23, v8
	v_mul_lo_u16_e32 v8, 0x90, v31
	v_sub_u16_e32 v78, v66, v8
	v_lshlrev_b32_e32 v16, 5, v78
	s_waitcnt lgkmcnt(0)
	s_barrier
	global_load_dwordx4 v[8:11], v16, s[8:9] offset:2048
	global_load_dwordx4 v[12:15], v16, s[8:9] offset:2064
	v_mul_u32_u24_sdwa v16, v30, s13 dst_sel:DWORD dst_unused:UNUSED_PAD src0_sel:WORD_0 src1_sel:DWORD
	v_lshrrev_b32_e32 v79, 23, v16
	v_mul_lo_u16_e32 v16, 0x90, v79
	v_sub_u16_e32 v80, v30, v16
	v_lshlrev_b32_e32 v24, 5, v80
	global_load_dwordx4 v[16:19], v24, s[8:9] offset:2048
	global_load_dwordx4 v[20:23], v24, s[8:9] offset:2064
	v_mul_u32_u24_sdwa v24, v86, s13 dst_sel:DWORD dst_unused:UNUSED_PAD src0_sel:WORD_0 src1_sel:DWORD
	v_lshrrev_b32_e32 v81, 23, v24
	v_mul_lo_u16_e32 v24, 0x90, v81
	v_sub_u16_e32 v82, v86, v24
	v_lshlrev_b32_e32 v28, 5, v82
	;; [unrolled: 7-line block ×3, first 2 shown]
	global_load_dwordx4 v[36:39], v28, s[8:9] offset:2048
	global_load_dwordx4 v[40:43], v28, s[8:9] offset:2064
	ds_read_b64 v[28:29], v67 offset:10368
	ds_read_b64 v[44:45], v67
	ds_read_b64 v[46:47], v67 offset:12960
	ds_read_b64 v[70:71], v67 offset:2592
	s_movk_i32 s13, 0xd80
	s_waitcnt vmcnt(7) lgkmcnt(3)
	v_mul_f64 v[72:73], v[28:29], v[10:11]
	v_fma_f64 v[72:73], v[50:51], v[8:9], -v[72:73]
	v_mul_f64 v[10:11], v[50:51], v[10:11]
	ds_read_b64 v[50:51], v67 offset:20736
	v_fmac_f64_e32 v[10:11], v[28:29], v[8:9]
	ds_read_b64 v[8:9], v67 offset:23328
	ds_read_b64 v[28:29], v67 offset:15552
	;; [unrolled: 1-line block ×3, first 2 shown]
	s_waitcnt vmcnt(6) lgkmcnt(3)
	v_mul_f64 v[76:77], v[50:51], v[14:15]
	v_mul_f64 v[14:15], v[58:59], v[14:15]
	v_fma_f64 v[76:77], v[58:59], v[12:13], -v[76:77]
	v_fmac_f64_e32 v[14:15], v[50:51], v[12:13]
	ds_read_b64 v[12:13], v67 offset:25920
	s_waitcnt vmcnt(5)
	v_mul_f64 v[50:51], v[46:47], v[18:19]
	v_mul_f64 v[18:19], v[48:49], v[18:19]
	v_fma_f64 v[50:51], v[48:49], v[16:17], -v[50:51]
	v_fmac_f64_e32 v[18:19], v[46:47], v[16:17]
	s_waitcnt vmcnt(4) lgkmcnt(3)
	v_mul_f64 v[16:17], v[8:9], v[22:23]
	v_mul_f64 v[22:23], v[56:57], v[22:23]
	v_fma_f64 v[16:17], v[56:57], v[20:21], -v[16:17]
	v_fmac_f64_e32 v[22:23], v[8:9], v[20:21]
	ds_read_b64 v[20:21], v85
	ds_read_b64 v[46:47], v84
	ds_read_b64 v[8:9], v67 offset:28512
	s_waitcnt vmcnt(3) lgkmcnt(5)
	v_mul_f64 v[48:49], v[28:29], v[26:27]
	v_mul_f64 v[26:27], v[52:53], v[26:27]
	v_fma_f64 v[48:49], v[52:53], v[24:25], -v[48:49]
	v_fmac_f64_e32 v[26:27], v[28:29], v[24:25]
	s_waitcnt vmcnt(2) lgkmcnt(3)
	v_mul_f64 v[24:25], v[12:13], v[34:35]
	v_mul_f64 v[28:29], v[54:55], v[34:35]
	v_fma_f64 v[24:25], v[54:55], v[32:33], -v[24:25]
	v_fmac_f64_e32 v[28:29], v[12:13], v[32:33]
	s_waitcnt vmcnt(1)
	v_mul_f64 v[12:13], v[74:75], v[38:39]
	v_mul_f64 v[32:33], v[60:61], v[38:39]
	v_fma_f64 v[12:13], v[60:61], v[36:37], -v[12:13]
	v_fmac_f64_e32 v[32:33], v[74:75], v[36:37]
	s_waitcnt vmcnt(0)
	v_mul_f64 v[36:37], v[62:63], v[42:43]
	v_add_f64 v[38:39], v[72:73], v[76:77]
	s_waitcnt lgkmcnt(0)
	v_mul_f64 v[34:35], v[8:9], v[42:43]
	v_fmac_f64_e32 v[36:37], v[8:9], v[40:41]
	v_add_f64 v[8:9], v[2:3], v[72:73]
	v_fmac_f64_e32 v[2:3], -0.5, v[38:39]
	v_add_f64 v[38:39], v[10:11], -v[14:15]
	v_fma_f64 v[34:35], v[62:63], v[40:41], -v[34:35]
	v_fma_f64 v[40:41], s[4:5], v[38:39], v[2:3]
	v_fmac_f64_e32 v[2:3], s[10:11], v[38:39]
	v_add_f64 v[38:39], v[44:45], v[10:11]
	v_add_f64 v[10:11], v[10:11], v[14:15]
	v_fmac_f64_e32 v[44:45], -0.5, v[10:11]
	v_add_f64 v[10:11], v[72:73], -v[76:77]
	v_add_f64 v[42:43], v[50:51], v[16:17]
	v_add_f64 v[38:39], v[38:39], v[14:15]
	v_fma_f64 v[14:15], s[10:11], v[10:11], v[44:45]
	v_fmac_f64_e32 v[44:45], s[4:5], v[10:11]
	v_add_f64 v[10:11], v[4:5], v[50:51]
	v_fmac_f64_e32 v[4:5], -0.5, v[42:43]
	v_add_f64 v[42:43], v[18:19], -v[22:23]
	v_fma_f64 v[52:53], s[4:5], v[42:43], v[4:5]
	v_fmac_f64_e32 v[4:5], s[10:11], v[42:43]
	v_add_f64 v[42:43], v[70:71], v[18:19]
	v_add_f64 v[18:19], v[18:19], v[22:23]
	;; [unrolled: 1-line block ×4, first 2 shown]
	v_fmac_f64_e32 v[70:71], -0.5, v[18:19]
	v_add_f64 v[16:17], v[50:51], -v[16:17]
	v_add_f64 v[22:23], v[48:49], v[24:25]
	v_fma_f64 v[18:19], s[10:11], v[16:17], v[70:71]
	v_fmac_f64_e32 v[70:71], s[4:5], v[16:17]
	v_add_f64 v[16:17], v[6:7], v[48:49]
	v_fmac_f64_e32 v[6:7], -0.5, v[22:23]
	v_add_f64 v[22:23], v[26:27], -v[28:29]
	v_fma_f64 v[50:51], s[4:5], v[22:23], v[6:7]
	v_fmac_f64_e32 v[6:7], s[10:11], v[22:23]
	v_add_f64 v[22:23], v[46:47], v[26:27]
	v_add_f64 v[26:27], v[26:27], v[28:29]
	;; [unrolled: 1-line block ×4, first 2 shown]
	v_fmac_f64_e32 v[46:47], -0.5, v[26:27]
	v_add_f64 v[24:25], v[48:49], -v[24:25]
	v_add_f64 v[28:29], v[12:13], v[34:35]
	v_fma_f64 v[26:27], s[10:11], v[24:25], v[46:47]
	v_fmac_f64_e32 v[46:47], s[4:5], v[24:25]
	v_add_f64 v[24:25], v[0:1], v[12:13]
	v_fmac_f64_e32 v[0:1], -0.5, v[28:29]
	v_add_f64 v[28:29], v[32:33], -v[36:37]
	v_fma_f64 v[48:49], s[4:5], v[28:29], v[0:1]
	v_fmac_f64_e32 v[0:1], s[10:11], v[28:29]
	v_add_f64 v[28:29], v[20:21], v[32:33]
	v_add_f64 v[32:33], v[32:33], v[36:37]
	v_fmac_f64_e32 v[20:21], -0.5, v[32:33]
	v_add_f64 v[12:13], v[12:13], -v[34:35]
	v_fma_f64 v[32:33], s[10:11], v[12:13], v[20:21]
	v_fmac_f64_e32 v[20:21], s[4:5], v[12:13]
	v_perm_b32 v12, v79, v31, s12
	v_pk_mul_lo_u16 v12, v12, s13 op_sel_hi:[1,0]
	v_lshlrev_b32_e32 v31, 3, v78
	v_and_b32_e32 v13, 0xff80, v12
	v_add_f64 v[8:9], v[8:9], v[76:77]
	v_add3_u32 v13, 0, v13, v31
	s_barrier
	ds_write2_b64 v13, v[8:9], v[40:41] offset1:144
	ds_write_b64 v13, v[2:3] offset:2304
	v_lshrrev_b32_e32 v2, 16, v12
	v_lshlrev_b32_e32 v3, 3, v80
	v_add3_u32 v2, 0, v2, v3
	v_perm_b32 v3, v83, v81, s12
	v_pk_mul_lo_u16 v3, v3, s13 op_sel_hi:[1,0]
	ds_write2_b64 v2, v[10:11], v[52:53] offset1:144
	ds_write_b64 v2, v[4:5] offset:2304
	v_and_b32_e32 v4, 0xff80, v3
	v_lshlrev_b32_e32 v5, 3, v82
	v_add3_u32 v12, 0, v4, v5
	v_lshrrev_b32_e32 v3, 16, v3
	v_lshlrev_b32_e32 v4, 3, v88
	v_add_f64 v[24:25], v[24:25], v[34:35]
	v_add3_u32 v3, 0, v3, v4
	ds_write2_b64 v12, v[16:17], v[50:51] offset1:144
	ds_write_b64 v12, v[6:7] offset:2304
	ds_write2_b64 v3, v[24:25], v[48:49] offset1:144
	ds_write_b64 v3, v[0:1] offset:2304
	v_lshlrev_b32_e32 v0, 1, v66
	v_mov_b32_e32 v1, 0
	v_add_f64 v[28:29], v[28:29], v[36:37]
	s_waitcnt lgkmcnt(0)
	s_barrier
	ds_read_b64 v[8:9], v67
	ds_read_b64 v[48:49], v67 offset:12960
	ds_read_b64 v[50:51], v67 offset:10368
	;; [unrolled: 1-line block ×8, first 2 shown]
	ds_read_b64 v[4:5], v85
	ds_read_b64 v[10:11], v84
	ds_read_b64 v[62:63], v67 offset:28512
	s_waitcnt lgkmcnt(0)
	s_barrier
	ds_write2_b64 v13, v[38:39], v[14:15] offset1:144
	ds_write_b64 v13, v[44:45] offset:2304
	ds_write2_b64 v2, v[42:43], v[18:19] offset1:144
	ds_write_b64 v2, v[70:71] offset:2304
	;; [unrolled: 2-line block ×4, first 2 shown]
	v_lshl_add_u64 v[2:3], v[0:1], 4, s[8:9]
	v_add_co_u32_e32 v22, vcc, s14, v2
	v_add_u32_e32 v0, 0xffffff94, v66
	s_nop 0
	v_addc_co_u32_e32 v23, vcc, 0, v3, vcc
	v_cmp_gt_u32_e32 vcc, s15, v66
	s_mov_b64 s[12:13], 0x1a00
	v_lshl_add_u64 v[20:21], v[2:3], 0, s[12:13]
	v_cndmask_b32_e32 v31, v0, v30, vcc
	v_lshlrev_b32_e32 v0, 1, v31
	s_waitcnt lgkmcnt(0)
	s_barrier
	global_load_dwordx4 v[12:15], v[22:23], off offset:2560
	global_load_dwordx4 v[16:19], v[20:21], off offset:16
	v_lshl_add_u64 v[20:21], v[0:1], 4, s[8:9]
	v_lshrrev_b16_e32 v0, 4, v86
	v_mul_u32_u24_e32 v0, 0x12f7, v0
	v_lshrrev_b32_e32 v82, 17, v0
	v_mul_lo_u16_e32 v0, 0x1b0, v82
	v_add_co_u32_e32 v32, vcc, s14, v20
	v_sub_u16_e32 v83, v86, v0
	v_lshl_add_u64 v[28:29], v[20:21], 0, s[12:13]
	v_addc_co_u32_e32 v33, vcc, 0, v21, vcc
	v_lshlrev_b32_e32 v0, 5, v83
	global_load_dwordx4 v[20:23], v[32:33], off offset:2560
	global_load_dwordx4 v[24:27], v[28:29], off offset:16
	v_lshl_add_u64 v[28:29], s[8:9], 0, v[0:1]
	v_lshrrev_b16_e32 v0, 4, v87
	v_mul_u32_u24_e32 v0, 0x12f7, v0
	v_lshrrev_b32_e32 v0, 17, v0
	v_mul_lo_u16_e32 v0, 0x1b0, v0
	v_lshl_add_u64 v[40:41], v[28:29], 0, s[12:13]
	v_add_co_u32_e32 v28, vcc, s14, v28
	v_sub_u16_e32 v88, v87, v0
	s_nop 0
	v_addc_co_u32_e32 v29, vcc, 0, v29, vcc
	v_lshlrev_b32_e32 v0, 5, v88
	global_load_dwordx4 v[32:35], v[28:29], off offset:2560
	global_load_dwordx4 v[36:39], v[40:41], off offset:16
	v_lshl_add_u64 v[28:29], s[8:9], 0, v[0:1]
	v_add_co_u32_e32 v40, vcc, s14, v28
	v_mov_b32_e32 v0, 0x2880
	s_nop 0
	v_addc_co_u32_e32 v41, vcc, 0, v29, vcc
	global_load_dwordx4 v[40:43], v[40:41], off offset:2560
	v_lshl_add_u64 v[28:29], v[28:29], 0, s[12:13]
	global_load_dwordx4 v[44:47], v[28:29], off offset:16
	ds_read_b64 v[28:29], v67 offset:10368
	ds_read_b64 v[70:71], v67
	ds_read_b64 v[72:73], v67 offset:12960
	ds_read_b64 v[74:75], v67 offset:2592
	s_movk_i32 s12, 0x6b
	v_cmp_lt_u32_e32 vcc, s12, v66
	s_waitcnt vmcnt(7) lgkmcnt(3)
	v_mul_f64 v[76:77], v[28:29], v[14:15]
	v_fma_f64 v[76:77], v[50:51], v[12:13], -v[76:77]
	v_mul_f64 v[14:15], v[50:51], v[14:15]
	ds_read_b64 v[50:51], v67 offset:20736
	v_fmac_f64_e32 v[14:15], v[28:29], v[12:13]
	ds_read_b64 v[12:13], v67 offset:23328
	ds_read_b64 v[28:29], v67 offset:15552
	ds_read_b64 v[78:79], v67 offset:18144
	v_cndmask_b32_e32 v0, 0, v0, vcc
	s_waitcnt vmcnt(6) lgkmcnt(3)
	v_mul_f64 v[80:81], v[50:51], v[18:19]
	v_mul_f64 v[18:19], v[58:59], v[18:19]
	v_fma_f64 v[80:81], v[58:59], v[16:17], -v[80:81]
	v_fmac_f64_e32 v[18:19], v[50:51], v[16:17]
	ds_read_b64 v[16:17], v67 offset:25920
	s_waitcnt vmcnt(5)
	v_mul_f64 v[50:51], v[72:73], v[22:23]
	v_mul_f64 v[22:23], v[48:49], v[22:23]
	v_fma_f64 v[50:51], v[48:49], v[20:21], -v[50:51]
	v_fmac_f64_e32 v[22:23], v[72:73], v[20:21]
	s_waitcnt vmcnt(4) lgkmcnt(3)
	v_mul_f64 v[20:21], v[12:13], v[26:27]
	v_mul_f64 v[26:27], v[56:57], v[26:27]
	v_fma_f64 v[20:21], v[56:57], v[24:25], -v[20:21]
	v_fmac_f64_e32 v[26:27], v[12:13], v[24:25]
	ds_read_b64 v[48:49], v85
	ds_read_b64 v[56:57], v84
	ds_read_b64 v[12:13], v67 offset:28512
	s_waitcnt lgkmcnt(0)
	s_barrier
	s_waitcnt vmcnt(3)
	v_mul_f64 v[24:25], v[28:29], v[34:35]
	v_mul_f64 v[34:35], v[52:53], v[34:35]
	v_fma_f64 v[24:25], v[52:53], v[32:33], -v[24:25]
	v_fmac_f64_e32 v[34:35], v[28:29], v[32:33]
	s_waitcnt vmcnt(2)
	v_mul_f64 v[28:29], v[16:17], v[38:39]
	v_mul_f64 v[32:33], v[54:55], v[38:39]
	v_fma_f64 v[28:29], v[54:55], v[36:37], -v[28:29]
	v_fmac_f64_e32 v[32:33], v[16:17], v[36:37]
	;; [unrolled: 5-line block ×3, first 2 shown]
	s_waitcnt vmcnt(0)
	v_mul_f64 v[40:41], v[62:63], v[46:47]
	v_add_f64 v[42:43], v[76:77], v[80:81]
	v_mul_f64 v[38:39], v[12:13], v[46:47]
	v_fmac_f64_e32 v[40:41], v[12:13], v[44:45]
	v_add_f64 v[12:13], v[8:9], v[76:77]
	v_fmac_f64_e32 v[8:9], -0.5, v[42:43]
	v_add_f64 v[42:43], v[14:15], -v[18:19]
	v_fma_f64 v[38:39], v[62:63], v[44:45], -v[38:39]
	v_fma_f64 v[44:45], s[4:5], v[42:43], v[8:9]
	v_fmac_f64_e32 v[8:9], s[10:11], v[42:43]
	v_add_f64 v[42:43], v[70:71], v[14:15]
	v_add_f64 v[14:15], v[14:15], v[18:19]
	v_add_f64 v[42:43], v[42:43], v[18:19]
	v_fmac_f64_e32 v[70:71], -0.5, v[14:15]
	v_add_f64 v[14:15], v[76:77], -v[80:81]
	v_add_f64 v[18:19], v[50:51], v[20:21]
	v_fma_f64 v[46:47], s[10:11], v[14:15], v[70:71]
	v_fmac_f64_e32 v[70:71], s[4:5], v[14:15]
	v_add_f64 v[14:15], v[6:7], v[50:51]
	v_fmac_f64_e32 v[6:7], -0.5, v[18:19]
	v_add_f64 v[18:19], v[22:23], -v[26:27]
	v_fma_f64 v[52:53], s[4:5], v[18:19], v[6:7]
	v_fmac_f64_e32 v[6:7], s[10:11], v[18:19]
	v_add_f64 v[18:19], v[74:75], v[22:23]
	v_add_f64 v[54:55], v[18:19], v[26:27]
	;; [unrolled: 1-line block ×4, first 2 shown]
	v_fmac_f64_e32 v[74:75], -0.5, v[18:19]
	v_add_f64 v[18:19], v[50:51], -v[20:21]
	v_add_f64 v[20:21], v[24:25], v[28:29]
	v_fma_f64 v[50:51], s[10:11], v[18:19], v[74:75]
	v_fmac_f64_e32 v[74:75], s[4:5], v[18:19]
	v_add_f64 v[18:19], v[10:11], v[24:25]
	v_fmac_f64_e32 v[10:11], -0.5, v[20:21]
	v_add_f64 v[20:21], v[34:35], -v[32:33]
	v_fma_f64 v[22:23], s[4:5], v[20:21], v[10:11]
	v_fmac_f64_e32 v[10:11], s[10:11], v[20:21]
	v_add_f64 v[20:21], v[56:57], v[34:35]
	v_add_f64 v[58:59], v[20:21], v[32:33]
	;; [unrolled: 1-line block ×4, first 2 shown]
	v_fmac_f64_e32 v[56:57], -0.5, v[20:21]
	v_add_f64 v[20:21], v[24:25], -v[28:29]
	v_add_f64 v[24:25], v[16:17], v[38:39]
	v_add_f64 v[18:19], v[18:19], v[28:29]
	v_fma_f64 v[28:29], s[10:11], v[20:21], v[56:57]
	v_fmac_f64_e32 v[56:57], s[4:5], v[20:21]
	v_add_f64 v[20:21], v[4:5], v[16:17]
	v_fmac_f64_e32 v[4:5], -0.5, v[24:25]
	v_add_f64 v[24:25], v[36:37], -v[40:41]
	ds_write_b64 v67, v[12:13]
	ds_write_b64 v67, v[44:45] offset:3456
	ds_write_b64 v67, v[8:9] offset:6912
	v_lshlrev_b32_e32 v8, 3, v31
	v_fma_f64 v[26:27], s[4:5], v[24:25], v[4:5]
	v_fmac_f64_e32 v[4:5], s[10:11], v[24:25]
	v_add_f64 v[24:25], v[48:49], v[36:37]
	v_add3_u32 v0, 0, v0, v8
	v_add_f64 v[32:33], v[24:25], v[40:41]
	v_add_f64 v[24:25], v[36:37], v[40:41]
	ds_write_b64 v0, v[14:15]
	ds_write_b64 v0, v[52:53] offset:3456
	ds_write_b64 v0, v[6:7] offset:6912
	v_mul_u32_u24_e32 v6, 0x2880, v82
	v_lshlrev_b32_e32 v7, 3, v83
	v_add_f64 v[20:21], v[20:21], v[38:39]
	v_fmac_f64_e32 v[48:49], -0.5, v[24:25]
	v_add_f64 v[16:17], v[16:17], -v[38:39]
	v_add3_u32 v31, 0, v6, v7
	v_lshl_add_u32 v36, v88, 3, 0
	v_fma_f64 v[34:35], s[10:11], v[16:17], v[48:49]
	v_fmac_f64_e32 v[48:49], s[4:5], v[16:17]
	ds_write_b64 v31, v[18:19]
	ds_write_b64 v31, v[22:23] offset:3456
	ds_write_b64 v31, v[10:11] offset:6912
	;; [unrolled: 1-line block ×5, first 2 shown]
	s_waitcnt lgkmcnt(0)
	s_barrier
	ds_read_b64 v[4:5], v67
	ds_read_b64 v[12:13], v67 offset:12960
	ds_read_b64 v[6:7], v67 offset:10368
	;; [unrolled: 1-line block ×8, first 2 shown]
	ds_read_b64 v[18:19], v85
	ds_read_b64 v[16:17], v84
	ds_read_b64 v[26:27], v67 offset:28512
	s_waitcnt lgkmcnt(0)
	s_barrier
	ds_write_b64 v67, v[42:43]
	ds_write_b64 v67, v[46:47] offset:3456
	ds_write_b64 v67, v[70:71] offset:6912
	ds_write_b64 v0, v[54:55]
	ds_write_b64 v0, v[50:51] offset:3456
	ds_write_b64 v0, v[74:75] offset:6912
	;; [unrolled: 3-line block ×3, first 2 shown]
	ds_write_b64 v36, v[32:33] offset:20736
	ds_write_b64 v36, v[34:35] offset:24192
	;; [unrolled: 1-line block ×3, first 2 shown]
	s_waitcnt lgkmcnt(0)
	s_barrier
	s_and_saveexec_b64 s[12:13], s[0:1]
	s_cbranch_execz .LBB0_17
; %bb.16:
	v_lshlrev_b32_e32 v0, 1, v87
	v_lshl_add_u64 v[28:29], v[0:1], 4, s[8:9]
	s_mov_b64 s[0:1], 0x5000
	v_lshl_add_u64 v[40:41], v[28:29], 0, s[0:1]
	v_add_co_u32_e32 v28, vcc, 0x5000, v28
	v_lshlrev_b32_e32 v0, 1, v86
	s_nop 0
	v_addc_co_u32_e32 v29, vcc, 0, v29, vcc
	s_movk_i32 s12, 0x5000
	global_load_dwordx4 v[32:35], v[28:29], off
	global_load_dwordx4 v[36:39], v[40:41], off offset:16
	v_lshl_add_u64 v[28:29], v[0:1], 4, s[8:9]
	v_lshl_add_u64 v[48:49], v[28:29], 0, s[0:1]
	v_add_co_u32_e32 v28, vcc, s12, v28
	v_lshlrev_b32_e32 v0, 1, v30
	s_nop 0
	v_addc_co_u32_e32 v29, vcc, 0, v29, vcc
	global_load_dwordx4 v[40:43], v[28:29], off
	global_load_dwordx4 v[44:47], v[48:49], off offset:16
	v_lshl_add_u64 v[48:49], v[0:1], 4, s[8:9]
	v_add_co_u32_e32 v28, vcc, s12, v48
	v_mul_lo_u32 v0, s3, v68
	s_nop 0
	v_addc_co_u32_e32 v29, vcc, 0, v49, vcc
	global_load_dwordx4 v[28:31], v[28:29], off
	v_lshl_add_u64 v[48:49], v[48:49], 0, s[0:1]
	global_load_dwordx4 v[48:51], v[48:49], off offset:16
	v_mul_lo_u32 v80, s2, v69
	v_mad_u64_u32 v[60:61], s[2:3], s2, v68, 0
	v_lshl_add_u64 v[68:69], v[2:3], 0, s[0:1]
	v_add_co_u32_e32 v2, vcc, s12, v2
	ds_read_b64 v[62:63], v67 offset:28512
	s_nop 0
	v_addc_co_u32_e32 v3, vcc, 0, v3, vcc
	global_load_dwordx4 v[52:55], v[2:3], off
	global_load_dwordx4 v[56:59], v[68:69], off offset:16
	ds_read_b64 v[2:3], v67 offset:23328
	ds_read_b64 v[68:69], v67 offset:20736
	;; [unrolled: 1-line block ×4, first 2 shown]
	ds_read_b64 v[74:75], v85
	ds_read_b64 v[76:77], v84
	ds_read_b64 v[78:79], v67 offset:25920
	v_add3_u32 v61, v61, v80, v0
	s_mov_b32 s0, 0xa000
	s_movk_i32 s1, 0x6000
	v_add_u32_e32 v0, 0x288, v66
	s_movk_i32 s2, 0xa20
	s_waitcnt vmcnt(7) lgkmcnt(4)
	v_mul_f64 v[80:81], v[34:35], v[70:71]
	v_mul_f64 v[70:71], v[32:33], v[70:71]
	s_waitcnt vmcnt(6)
	v_mul_f64 v[82:83], v[38:39], v[62:63]
	v_mul_f64 v[62:63], v[36:37], v[62:63]
	v_fmac_f64_e32 v[70:71], v[24:25], v[34:35]
	v_fma_f64 v[32:33], v[24:25], v[32:33], -v[80:81]
	v_fmac_f64_e32 v[62:63], v[26:27], v[38:39]
	v_fma_f64 v[36:37], v[26:27], v[36:37], -v[82:83]
	s_waitcnt vmcnt(5) lgkmcnt(3)
	v_mul_f64 v[84:85], v[42:43], v[72:73]
	s_waitcnt vmcnt(4) lgkmcnt(0)
	v_mul_f64 v[86:87], v[46:47], v[78:79]
	v_mul_f64 v[78:79], v[44:45], v[78:79]
	v_mul_f64 v[72:73], v[40:41], v[72:73]
	v_fma_f64 v[80:81], v[22:23], v[44:45], -v[86:87]
	v_fmac_f64_e32 v[78:79], v[22:23], v[46:47]
	v_add_f64 v[22:23], v[70:71], v[74:75]
	v_fma_f64 v[26:27], v[20:21], v[40:41], -v[84:85]
	v_fmac_f64_e32 v[72:73], v[20:21], v[42:43]
	v_add_f64 v[20:21], v[70:71], v[62:63]
	v_add_f64 v[44:45], v[70:71], -v[62:63]
	v_add_f64 v[24:25], v[62:63], v[22:23]
	ds_read_b64 v[62:63], v67 offset:12960
	v_add_f64 v[40:41], v[32:33], -v[36:37]
	v_add_f64 v[34:35], v[32:33], v[36:37]
	v_add_f64 v[32:33], v[18:19], v[32:33]
	v_add_f64 v[82:83], v[26:27], v[80:81]
	v_add_f64 v[38:39], v[72:73], v[78:79]
	v_add_f64 v[42:43], v[72:73], v[76:77]
	v_fma_f64 v[20:21], -0.5, v[20:21], v[74:75]
	v_fma_f64 v[18:19], -0.5, v[34:35], v[18:19]
	v_add_f64 v[22:23], v[32:33], v[36:37]
	v_fma_f64 v[32:33], -0.5, v[82:83], v[16:17]
	v_add_f64 v[36:37], v[72:73], -v[78:79]
	v_add_f64 v[16:17], v[16:17], v[26:27]
	v_add_f64 v[70:71], v[26:27], -v[80:81]
	v_fma_f64 v[34:35], -0.5, v[38:39], v[76:77]
	v_add_f64 v[38:39], v[78:79], v[42:43]
	v_fma_f64 v[42:43], s[4:5], v[40:41], v[20:21]
	v_fmac_f64_e32 v[20:21], s[10:11], v[40:41]
	v_fma_f64 v[40:41], s[10:11], v[44:45], v[18:19]
	v_fmac_f64_e32 v[18:19], s[4:5], v[44:45]
	;; [unrolled: 2-line block ×3, first 2 shown]
	v_add_f64 v[36:37], v[16:17], v[80:81]
	ds_read_b64 v[16:17], v67 offset:10368
	s_waitcnt vmcnt(3) lgkmcnt(1)
	v_mul_f64 v[26:27], v[30:31], v[62:63]
	v_mul_f64 v[62:63], v[28:29], v[62:63]
	v_fma_f64 v[46:47], s[4:5], v[70:71], v[34:35]
	v_fmac_f64_e32 v[34:35], s[10:11], v[70:71]
	v_fma_f64 v[70:71], v[12:13], v[28:29], -v[26:27]
	v_fmac_f64_e32 v[62:63], v[12:13], v[30:31]
	ds_read_b64 v[12:13], v67 offset:2592
	ds_read_b64 v[30:31], v67
	s_waitcnt vmcnt(2)
	v_mul_f64 v[26:27], v[50:51], v[2:3]
	v_mul_f64 v[2:3], v[48:49], v[2:3]
	v_fmac_f64_e32 v[2:3], v[14:15], v[50:51]
	v_fma_f64 v[72:73], v[14:15], v[48:49], -v[26:27]
	v_add_f64 v[14:15], v[62:63], v[2:3]
	s_waitcnt lgkmcnt(1)
	v_fma_f64 v[14:15], -0.5, v[14:15], v[12:13]
	v_add_f64 v[12:13], v[62:63], v[12:13]
	v_add_f64 v[50:51], v[2:3], v[12:13]
	;; [unrolled: 1-line block ×3, first 2 shown]
	v_add_f64 v[26:27], v[70:71], -v[72:73]
	v_fma_f64 v[12:13], -0.5, v[12:13], v[10:11]
	v_add_f64 v[2:3], v[62:63], -v[2:3]
	v_fma_f64 v[28:29], s[4:5], v[26:27], v[14:15]
	v_fmac_f64_e32 v[14:15], s[10:11], v[26:27]
	v_fma_f64 v[26:27], s[10:11], v[2:3], v[12:13]
	v_fmac_f64_e32 v[12:13], s[4:5], v[2:3]
	v_add_f64 v[2:3], v[10:11], v[70:71]
	v_add_f64 v[48:49], v[2:3], v[72:73]
	s_waitcnt vmcnt(1)
	v_mul_f64 v[2:3], v[54:55], v[16:17]
	v_fma_f64 v[2:3], v[6:7], v[52:53], -v[2:3]
	v_mul_f64 v[16:17], v[52:53], v[16:17]
	s_waitcnt vmcnt(0)
	v_mul_f64 v[52:53], v[56:57], v[68:69]
	v_fmac_f64_e32 v[16:17], v[6:7], v[54:55]
	v_fmac_f64_e32 v[52:53], v[8:9], v[58:59]
	v_mul_f64 v[10:11], v[58:59], v[68:69]
	v_add_f64 v[6:7], v[16:17], v[52:53]
	v_fma_f64 v[10:11], v[8:9], v[56:57], -v[10:11]
	s_waitcnt lgkmcnt(0)
	v_fma_f64 v[8:9], -0.5, v[6:7], v[30:31]
	v_add_f64 v[6:7], v[16:17], v[30:31]
	v_add_f64 v[62:63], v[2:3], -v[10:11]
	v_add_f64 v[58:59], v[52:53], v[6:7]
	v_add_f64 v[6:7], v[2:3], v[10:11]
	;; [unrolled: 1-line block ×4, first 2 shown]
	v_lshl_add_u64 v[2:3], v[60:61], 4, s[6:7]
	v_mov_b32_e32 v67, v1
	v_lshl_add_u64 v[2:3], v[64:65], 4, v[2:3]
	v_fma_f64 v[6:7], -0.5, v[6:7], v[4:5]
	v_lshl_add_u64 v[4:5], v[66:67], 4, v[2:3]
	v_add_f64 v[16:17], v[16:17], -v[52:53]
	v_add_co_u32_e32 v10, vcc, s12, v4
	v_fma_f64 v[54:55], s[4:5], v[62:63], v[8:9]
	v_fmac_f64_e32 v[8:9], s[10:11], v[62:63]
	v_fma_f64 v[52:53], s[10:11], v[16:17], v[6:7]
	v_fmac_f64_e32 v[6:7], s[4:5], v[16:17]
	v_addc_co_u32_e32 v11, vcc, 0, v5, vcc
	global_store_dwordx4 v[10:11], v[6:9], off offset:256
	global_store_dwordx4 v[4:5], v[56:59], off
	s_nop 0
	v_add_co_u32_e32 v6, vcc, s0, v4
	s_nop 1
	v_addc_co_u32_e32 v7, vcc, 0, v5, vcc
	global_store_dwordx4 v[6:7], v[52:55], off offset:512
	v_add_co_u32_e32 v6, vcc, s14, v4
	s_nop 1
	v_addc_co_u32_e32 v7, vcc, 0, v5, vcc
	global_store_dwordx4 v[6:7], v[48:51], off offset:1088
	v_add_co_u32_e32 v6, vcc, s1, v4
	s_mov_b32 s1, 0xb000
	s_nop 0
	v_addc_co_u32_e32 v7, vcc, 0, v5, vcc
	v_add_co_u32_e32 v4, vcc, s1, v4
	s_mov_b32 s1, 0xca4587e7
	s_nop 0
	v_addc_co_u32_e32 v5, vcc, 0, v5, vcc
	global_store_dwordx4 v[4:5], v[26:29], off offset:1600
	v_mul_hi_u32 v4, v0, s1
	v_lshrrev_b32_e32 v4, 10, v4
	v_mad_u32_u24 v0, v4, s2, v0
	v_lshl_add_u64 v[4:5], v[0:1], 4, v[2:3]
	global_store_dwordx4 v[6:7], v[12:15], off offset:1344
	v_add_co_u32_e32 v6, vcc, s12, v4
	global_store_dwordx4 v[4:5], v[36:39], off
	s_nop 0
	v_addc_co_u32_e32 v7, vcc, 0, v5, vcc
	v_add_co_u32_e32 v4, vcc, s0, v4
	v_add_u32_e32 v0, 0x3cc, v66
	s_nop 0
	v_addc_co_u32_e32 v5, vcc, 0, v5, vcc
	global_store_dwordx4 v[4:5], v[44:47], off offset:512
	v_mul_hi_u32 v4, v0, s1
	v_lshrrev_b32_e32 v4, 10, v4
	v_mad_u32_u24 v0, v4, s2, v0
	v_lshl_add_u64 v[0:1], v[0:1], 4, v[2:3]
	v_add_co_u32_e32 v2, vcc, 0x5000, v0
	global_store_dwordx4 v[6:7], v[32:35], off offset:256
	s_nop 0
	v_addc_co_u32_e32 v3, vcc, 0, v1, vcc
	global_store_dwordx4 v[0:1], v[22:25], off
	v_add_co_u32_e32 v0, vcc, 0xa000, v0
	global_store_dwordx4 v[2:3], v[18:21], off offset:256
	s_nop 0
	v_addc_co_u32_e32 v1, vcc, 0, v1, vcc
	global_store_dwordx4 v[0:1], v[40:43], off offset:512
.LBB0_17:
	s_endpgm
	.section	.rodata,"a",@progbits
	.p2align	6, 0x0
	.amdhsa_kernel fft_rtc_fwd_len3888_factors_16_3_3_3_3_3_wgs_324_tpt_324_halfLds_dp_op_CI_CI_unitstride_sbrr_dirReg
		.amdhsa_group_segment_fixed_size 0
		.amdhsa_private_segment_fixed_size 0
		.amdhsa_kernarg_size 104
		.amdhsa_user_sgpr_count 2
		.amdhsa_user_sgpr_dispatch_ptr 0
		.amdhsa_user_sgpr_queue_ptr 0
		.amdhsa_user_sgpr_kernarg_segment_ptr 1
		.amdhsa_user_sgpr_dispatch_id 0
		.amdhsa_user_sgpr_kernarg_preload_length 0
		.amdhsa_user_sgpr_kernarg_preload_offset 0
		.amdhsa_user_sgpr_private_segment_size 0
		.amdhsa_uses_dynamic_stack 0
		.amdhsa_enable_private_segment 0
		.amdhsa_system_sgpr_workgroup_id_x 1
		.amdhsa_system_sgpr_workgroup_id_y 0
		.amdhsa_system_sgpr_workgroup_id_z 0
		.amdhsa_system_sgpr_workgroup_info 0
		.amdhsa_system_vgpr_workitem_id 0
		.amdhsa_next_free_vgpr 93
		.amdhsa_next_free_sgpr 28
		.amdhsa_accum_offset 96
		.amdhsa_reserve_vcc 1
		.amdhsa_float_round_mode_32 0
		.amdhsa_float_round_mode_16_64 0
		.amdhsa_float_denorm_mode_32 3
		.amdhsa_float_denorm_mode_16_64 3
		.amdhsa_dx10_clamp 1
		.amdhsa_ieee_mode 1
		.amdhsa_fp16_overflow 0
		.amdhsa_tg_split 0
		.amdhsa_exception_fp_ieee_invalid_op 0
		.amdhsa_exception_fp_denorm_src 0
		.amdhsa_exception_fp_ieee_div_zero 0
		.amdhsa_exception_fp_ieee_overflow 0
		.amdhsa_exception_fp_ieee_underflow 0
		.amdhsa_exception_fp_ieee_inexact 0
		.amdhsa_exception_int_div_zero 0
	.end_amdhsa_kernel
	.text
.Lfunc_end0:
	.size	fft_rtc_fwd_len3888_factors_16_3_3_3_3_3_wgs_324_tpt_324_halfLds_dp_op_CI_CI_unitstride_sbrr_dirReg, .Lfunc_end0-fft_rtc_fwd_len3888_factors_16_3_3_3_3_3_wgs_324_tpt_324_halfLds_dp_op_CI_CI_unitstride_sbrr_dirReg
                                        ; -- End function
	.section	.AMDGPU.csdata,"",@progbits
; Kernel info:
; codeLenInByte = 9868
; NumSgprs: 34
; NumVgprs: 93
; NumAgprs: 0
; TotalNumVgprs: 93
; ScratchSize: 0
; MemoryBound: 1
; FloatMode: 240
; IeeeMode: 1
; LDSByteSize: 0 bytes/workgroup (compile time only)
; SGPRBlocks: 4
; VGPRBlocks: 11
; NumSGPRsForWavesPerEU: 34
; NumVGPRsForWavesPerEU: 93
; AccumOffset: 96
; Occupancy: 5
; WaveLimiterHint : 1
; COMPUTE_PGM_RSRC2:SCRATCH_EN: 0
; COMPUTE_PGM_RSRC2:USER_SGPR: 2
; COMPUTE_PGM_RSRC2:TRAP_HANDLER: 0
; COMPUTE_PGM_RSRC2:TGID_X_EN: 1
; COMPUTE_PGM_RSRC2:TGID_Y_EN: 0
; COMPUTE_PGM_RSRC2:TGID_Z_EN: 0
; COMPUTE_PGM_RSRC2:TIDIG_COMP_CNT: 0
; COMPUTE_PGM_RSRC3_GFX90A:ACCUM_OFFSET: 23
; COMPUTE_PGM_RSRC3_GFX90A:TG_SPLIT: 0
	.text
	.p2alignl 6, 3212836864
	.fill 256, 4, 3212836864
	.type	__hip_cuid_2e41184cb2a3d92f,@object ; @__hip_cuid_2e41184cb2a3d92f
	.section	.bss,"aw",@nobits
	.globl	__hip_cuid_2e41184cb2a3d92f
__hip_cuid_2e41184cb2a3d92f:
	.byte	0                               ; 0x0
	.size	__hip_cuid_2e41184cb2a3d92f, 1

	.ident	"AMD clang version 19.0.0git (https://github.com/RadeonOpenCompute/llvm-project roc-6.4.0 25133 c7fe45cf4b819c5991fe208aaa96edf142730f1d)"
	.section	".note.GNU-stack","",@progbits
	.addrsig
	.addrsig_sym __hip_cuid_2e41184cb2a3d92f
	.amdgpu_metadata
---
amdhsa.kernels:
  - .agpr_count:     0
    .args:
      - .actual_access:  read_only
        .address_space:  global
        .offset:         0
        .size:           8
        .value_kind:     global_buffer
      - .offset:         8
        .size:           8
        .value_kind:     by_value
      - .actual_access:  read_only
        .address_space:  global
        .offset:         16
        .size:           8
        .value_kind:     global_buffer
      - .actual_access:  read_only
        .address_space:  global
        .offset:         24
        .size:           8
        .value_kind:     global_buffer
      - .actual_access:  read_only
        .address_space:  global
        .offset:         32
        .size:           8
        .value_kind:     global_buffer
      - .offset:         40
        .size:           8
        .value_kind:     by_value
      - .actual_access:  read_only
        .address_space:  global
        .offset:         48
        .size:           8
        .value_kind:     global_buffer
      - .actual_access:  read_only
        .address_space:  global
        .offset:         56
        .size:           8
        .value_kind:     global_buffer
      - .offset:         64
        .size:           4
        .value_kind:     by_value
      - .actual_access:  read_only
        .address_space:  global
        .offset:         72
        .size:           8
        .value_kind:     global_buffer
      - .actual_access:  read_only
        .address_space:  global
        .offset:         80
        .size:           8
        .value_kind:     global_buffer
      - .actual_access:  read_only
        .address_space:  global
        .offset:         88
        .size:           8
        .value_kind:     global_buffer
      - .actual_access:  write_only
        .address_space:  global
        .offset:         96
        .size:           8
        .value_kind:     global_buffer
    .group_segment_fixed_size: 0
    .kernarg_segment_align: 8
    .kernarg_segment_size: 104
    .language:       OpenCL C
    .language_version:
      - 2
      - 0
    .max_flat_workgroup_size: 324
    .name:           fft_rtc_fwd_len3888_factors_16_3_3_3_3_3_wgs_324_tpt_324_halfLds_dp_op_CI_CI_unitstride_sbrr_dirReg
    .private_segment_fixed_size: 0
    .sgpr_count:     34
    .sgpr_spill_count: 0
    .symbol:         fft_rtc_fwd_len3888_factors_16_3_3_3_3_3_wgs_324_tpt_324_halfLds_dp_op_CI_CI_unitstride_sbrr_dirReg.kd
    .uniform_work_group_size: 1
    .uses_dynamic_stack: false
    .vgpr_count:     93
    .vgpr_spill_count: 0
    .wavefront_size: 64
amdhsa.target:   amdgcn-amd-amdhsa--gfx950
amdhsa.version:
  - 1
  - 2
...

	.end_amdgpu_metadata
